;; amdgpu-corpus repo=ROCm/rocFFT kind=compiled arch=gfx1030 opt=O3
	.text
	.amdgcn_target "amdgcn-amd-amdhsa--gfx1030"
	.amdhsa_code_object_version 6
	.protected	fft_rtc_back_len100_factors_10_10_wgs_250_tpt_10_dim2_sp_ip_CI_sbcc_twdbase8_3step_dirReg_intrinsicReadWrite ; -- Begin function fft_rtc_back_len100_factors_10_10_wgs_250_tpt_10_dim2_sp_ip_CI_sbcc_twdbase8_3step_dirReg_intrinsicReadWrite
	.globl	fft_rtc_back_len100_factors_10_10_wgs_250_tpt_10_dim2_sp_ip_CI_sbcc_twdbase8_3step_dirReg_intrinsicReadWrite
	.p2align	8
	.type	fft_rtc_back_len100_factors_10_10_wgs_250_tpt_10_dim2_sp_ip_CI_sbcc_twdbase8_3step_dirReg_intrinsicReadWrite,@function
fft_rtc_back_len100_factors_10_10_wgs_250_tpt_10_dim2_sp_ip_CI_sbcc_twdbase8_3step_dirReg_intrinsicReadWrite: ; @fft_rtc_back_len100_factors_10_10_wgs_250_tpt_10_dim2_sp_ip_CI_sbcc_twdbase8_3step_dirReg_intrinsicReadWrite
; %bb.0:
	s_load_dwordx4 s[0:3], s[4:5], 0x10
	s_waitcnt lgkmcnt(0)
	s_load_dwordx2 s[12:13], s[0:1], 0x8
	s_waitcnt lgkmcnt(0)
	s_add_u32 s0, s12, -1
	s_addc_u32 s1, s13, -1
	s_add_u32 s7, 0, 0xd7093700
	s_addc_u32 s8, 0, 51
	s_mul_hi_u32 s10, s7, 0xffffffe7
	s_add_i32 s8, s8, 0xa3d7070
	s_sub_i32 s10, s10, s7
	s_mul_i32 s14, s8, 0xffffffe7
	s_mul_i32 s9, s7, 0xffffffe7
	s_add_i32 s10, s10, s14
	s_mul_hi_u32 s11, s7, s9
	s_mul_i32 s16, s7, s10
	s_mul_hi_u32 s14, s7, s10
	s_mul_hi_u32 s15, s8, s9
	s_mul_i32 s9, s8, s9
	s_add_u32 s11, s11, s16
	s_addc_u32 s14, 0, s14
	s_mul_hi_u32 s17, s8, s10
	s_add_u32 s9, s11, s9
	s_mul_i32 s10, s8, s10
	s_addc_u32 s9, s14, s15
	s_addc_u32 s11, s17, 0
	s_add_u32 s9, s9, s10
	v_add_co_u32 v1, s7, s7, s9
	s_addc_u32 s9, 0, s11
	s_cmp_lg_u32 s7, 0
	s_addc_u32 s7, s8, s9
	v_readfirstlane_b32 s8, v1
	s_mul_i32 s10, s0, s7
	s_mul_hi_u32 s9, s0, s7
	s_mul_hi_u32 s11, s1, s7
	s_mul_i32 s7, s1, s7
	s_mul_hi_u32 s14, s0, s8
	s_mul_hi_u32 s15, s1, s8
	s_mul_i32 s8, s1, s8
	s_add_u32 s10, s14, s10
	s_addc_u32 s9, 0, s9
	s_add_u32 s8, s10, s8
	s_addc_u32 s8, s9, s15
	s_addc_u32 s9, s11, 0
	s_add_u32 s14, s8, s7
	s_addc_u32 s15, 0, s9
	s_mul_i32 s8, s14, 25
	s_add_u32 s7, s14, 1
	v_sub_co_u32 v1, s0, s0, s8
	s_mul_hi_u32 s8, s14, 25
	s_addc_u32 s9, s15, 0
	s_mul_i32 s10, s15, 25
	v_sub_co_u32 v2, s11, v1, 25
	s_add_u32 s16, s14, 2
	s_addc_u32 s17, s15, 0
	s_add_i32 s8, s8, s10
	s_cmp_lg_u32 s0, 0
	v_readfirstlane_b32 s0, v2
	s_subb_u32 s8, s1, s8
	s_cmp_lg_u32 s11, 0
	s_load_dwordx2 s[10:11], s[4:5], 0x0
	s_subb_u32 s1, s8, 0
	s_cmp_gt_u32 s0, 24
	s_cselect_b32 s0, -1, 0
	s_cmp_eq_u32 s1, 0
	v_readfirstlane_b32 s1, v1
	s_cselect_b32 s0, s0, -1
	s_cmp_lg_u32 s0, 0
	s_cselect_b32 s16, s16, s7
	s_cselect_b32 s17, s17, s9
	s_cmp_gt_u32 s1, 24
	s_load_dwordx2 s[0:1], s[4:5], 0x50
	s_cselect_b32 s7, -1, 0
	s_cmp_eq_u32 s8, 0
	s_load_dwordx2 s[8:9], s[2:3], 0x0
	s_cselect_b32 s7, s7, -1
	s_cmp_lg_u32 s7, 0
	s_mov_b32 s7, 0
	s_waitcnt lgkmcnt(0)
	s_cselect_b32 s9, s16, s14
	s_cselect_b32 s15, s17, s15
	s_add_u32 s14, s9, 1
	s_addc_u32 s15, s15, 0
	s_mov_b64 s[16:17], 0
	v_cmp_lt_u64_e64 s7, s[6:7], s[14:15]
	s_and_b32 vcc_lo, exec_lo, s7
	s_cbranch_vccnz .LBB0_2
; %bb.1:
	v_cvt_f32_u32_e32 v1, s14
	s_sub_i32 s9, 0, s14
	v_rcp_iflag_f32_e32 v1, v1
	v_mul_f32_e32 v1, 0x4f7ffffe, v1
	v_cvt_u32_f32_e32 v1, v1
	v_readfirstlane_b32 s7, v1
	s_mul_i32 s9, s9, s7
	s_mul_hi_u32 s9, s7, s9
	s_add_i32 s7, s7, s9
	s_mul_hi_u32 s7, s6, s7
	s_mul_i32 s9, s7, s14
	s_add_i32 s16, s7, 1
	s_sub_i32 s9, s6, s9
	s_sub_i32 s17, s9, s14
	s_cmp_ge_u32 s9, s14
	s_cselect_b32 s7, s16, s7
	s_cselect_b32 s9, s17, s9
	s_add_i32 s16, s7, 1
	s_cmp_ge_u32 s9, s14
	s_cselect_b32 s16, s16, s7
.LBB0_2:
	v_mul_u32_u24_e32 v1, 0xa3e, v0
	s_load_dwordx4 s[20:23], s[2:3], 0x8
	s_mul_i32 s7, s16, s15
	s_mul_hi_u32 s9, s16, s14
	s_load_dwordx2 s[4:5], s[4:5], 0x8
	v_lshrrev_b32_e32 v7, 16, v1
	s_add_i32 s9, s9, s7
	s_mul_i32 s7, s16, s14
	s_sub_u32 s6, s6, s7
	v_mul_lo_u16 v1, v7, 25
	s_subb_u32 s7, 0, s9
	s_mul_hi_u32 s9, s6, 25
	s_mul_i32 s6, s6, 25
	s_mul_i32 s7, s7, 25
	v_sub_nc_u16 v1, v0, v1
	s_add_i32 s9, s9, s7
	v_add_nc_u32_e32 v3, 10, v7
	v_mul_u32_u24_e32 v0, 0x107, v0
	v_and_b32_e32 v25, 0xffff, v1
	s_waitcnt lgkmcnt(0)
	s_mul_i32 s2, s6, s20
	s_mul_i32 s3, s22, s16
	v_mul_lo_u32 v1, s8, v7
	s_add_i32 s7, s3, s2
	v_add_co_u32 v5, s2, s6, v25
	v_add_co_ci_u32_e64 v6, null, s9, 0, s2
	v_mul_lo_u32 v8, s20, v25
	v_mul_lo_u32 v3, s8, v3
	s_add_u32 s2, s6, 25
	v_cmp_gt_u64_e32 vcc_lo, s[12:13], v[5:6]
	v_add_nc_u32_e32 v6, 20, v7
	s_addc_u32 s3, s9, 0
	s_lshl_b32 s6, s7, 3
	v_cmp_le_u64_e64 s2, s[2:3], s[12:13]
	v_add_lshl_u32 v1, v8, v1, 3
	v_mul_lo_u32 v6, s8, v6
	v_add_lshl_u32 v3, v8, v3, 3
	s_mov_b32 s3, 0x31014000
	v_lshlrev_b32_e32 v25, 3, v25
	s_or_b32 vcc_lo, s2, vcc_lo
	s_mov_b32 s2, -2
	v_cndmask_b32_e32 v1, -1, v1, vcc_lo
	v_cndmask_b32_e32 v3, -1, v3, vcc_lo
	v_add_lshl_u32 v6, v8, v6, 3
	v_lshrrev_b32_e32 v0, 16, v0
	s_clause 0x1
	buffer_load_dwordx2 v[1:2], v1, s[0:3], s6 offen
	buffer_load_dwordx2 v[3:4], v3, s[0:3], s6 offen
	v_cndmask_b32_e32 v6, -1, v6, vcc_lo
	v_mul_lo_u16 v0, 0x64, v0
	buffer_load_dwordx2 v[9:10], v6, s[0:3], s6 offen
	v_add_nc_u32_e32 v6, 30, v7
	v_mul_lo_u32 v6, s8, v6
	v_add_lshl_u32 v6, v8, v6, 3
	v_cndmask_b32_e32 v6, -1, v6, vcc_lo
	buffer_load_dwordx2 v[11:12], v6, s[0:3], s6 offen
	v_add_nc_u32_e32 v6, 40, v7
	v_mul_lo_u32 v6, s8, v6
	v_add_lshl_u32 v6, v8, v6, 3
	v_cndmask_b32_e32 v6, -1, v6, vcc_lo
	;; [unrolled: 5-line block ×5, first 2 shown]
	buffer_load_dwordx2 v[19:20], v6, s[0:3], s6 offen
	v_or_b32_e32 v6, 0x50, v7
	v_mul_lo_u32 v6, s8, v6
	v_add_lshl_u32 v6, v8, v6, 3
	v_cndmask_b32_e32 v6, -1, v6, vcc_lo
	buffer_load_dwordx2 v[21:22], v6, s[0:3], s6 offen
	v_add_nc_u32_e32 v6, 0x5a, v7
	v_mul_lo_u32 v6, s8, v6
	v_add_lshl_u32 v6, v8, v6, 3
	v_cndmask_b32_e32 v6, -1, v6, vcc_lo
	buffer_load_dwordx2 v[23:24], v6, s[0:3], s6 offen
	s_waitcnt vmcnt(7)
	v_add_f32_e32 v6, v1, v9
	s_waitcnt vmcnt(5)
	v_sub_f32_e32 v30, v9, v13
	v_add_f32_e32 v6, v6, v13
	s_waitcnt vmcnt(3)
	v_add_f32_e32 v26, v13, v17
	v_sub_f32_e32 v29, v14, v18
	v_add_f32_e32 v6, v6, v17
	v_fma_f32 v26, -0.5, v26, v1
	s_waitcnt vmcnt(1)
	v_sub_f32_e32 v27, v10, v22
	v_sub_f32_e32 v31, v21, v17
	;; [unrolled: 1-line block ×3, first 2 shown]
	v_add_f32_e32 v6, v6, v21
	v_fmamk_f32 v28, v27, 0xbf737871, v26
	v_fmac_f32_e32 v26, 0x3f737871, v27
	v_add_f32_e32 v30, v30, v31
	v_sub_f32_e32 v31, v13, v9
	v_sub_f32_e32 v13, v13, v17
	v_fmac_f32_e32 v28, 0xbf167918, v29
	v_fmac_f32_e32 v26, 0x3f167918, v29
	v_sub_f32_e32 v17, v10, v14
	v_add_f32_e32 v31, v31, v32
	v_fmac_f32_e32 v28, 0x3e9e377a, v30
	v_fmac_f32_e32 v26, 0x3e9e377a, v30
	v_add_f32_e32 v30, v9, v21
	v_sub_f32_e32 v9, v9, v21
	v_sub_f32_e32 v21, v22, v18
	v_fma_f32 v1, -0.5, v30, v1
	v_add_f32_e32 v17, v17, v21
	s_waitcnt vmcnt(0)
	v_sub_f32_e32 v21, v23, v19
	v_fmamk_f32 v30, v29, 0x3f737871, v1
	v_fmac_f32_e32 v1, 0xbf737871, v29
	v_add_f32_e32 v29, v14, v18
	v_fmac_f32_e32 v30, 0xbf167918, v27
	v_fmac_f32_e32 v1, 0x3f167918, v27
	v_fma_f32 v29, -0.5, v29, v2
	v_add_f32_e32 v27, v2, v10
	v_fmac_f32_e32 v30, 0x3e9e377a, v31
	v_fmac_f32_e32 v1, 0x3e9e377a, v31
	v_fmamk_f32 v31, v9, 0x3f737871, v29
	v_fmac_f32_e32 v29, 0xbf737871, v9
	v_add_f32_e32 v27, v27, v14
	v_fmac_f32_e32 v31, 0x3f167918, v13
	v_fmac_f32_e32 v29, 0xbf167918, v13
	v_add_f32_e32 v27, v27, v18
	v_fmac_f32_e32 v31, 0x3e9e377a, v17
	v_fmac_f32_e32 v29, 0x3e9e377a, v17
	v_add_f32_e32 v17, v10, v22
	v_sub_f32_e32 v10, v14, v10
	v_sub_f32_e32 v14, v18, v22
	v_add_f32_e32 v27, v27, v22
	v_fmac_f32_e32 v2, -0.5, v17
	v_add_f32_e32 v10, v10, v14
	v_fmamk_f32 v32, v13, 0xbf737871, v2
	v_fmac_f32_e32 v2, 0x3f737871, v13
	v_sub_f32_e32 v13, v11, v15
	v_fmac_f32_e32 v32, 0x3f167918, v9
	v_fmac_f32_e32 v2, 0xbf167918, v9
	v_add_f32_e32 v9, v3, v11
	v_add_f32_e32 v13, v13, v21
	v_fmac_f32_e32 v32, 0x3e9e377a, v10
	v_fmac_f32_e32 v2, 0x3e9e377a, v10
	v_add_f32_e32 v9, v9, v15
	v_sub_f32_e32 v10, v16, v20
	v_add_f32_e32 v9, v9, v19
	v_add_f32_e32 v17, v9, v23
	;; [unrolled: 1-line block ×3, first 2 shown]
	v_fma_f32 v18, -0.5, v9, v3
	v_sub_f32_e32 v9, v12, v24
	v_fmamk_f32 v14, v9, 0xbf737871, v18
	v_fmac_f32_e32 v18, 0x3f737871, v9
	v_fmac_f32_e32 v14, 0xbf167918, v10
	;; [unrolled: 1-line block ×5, first 2 shown]
	v_add_f32_e32 v13, v11, v23
	v_fma_f32 v21, -0.5, v13, v3
	v_sub_f32_e32 v3, v15, v11
	v_sub_f32_e32 v13, v19, v23
	v_fmamk_f32 v22, v10, 0x3f737871, v21
	v_fmac_f32_e32 v21, 0xbf737871, v10
	v_add_f32_e32 v3, v3, v13
	v_sub_f32_e32 v10, v12, v16
	v_fmac_f32_e32 v22, 0xbf167918, v9
	v_fmac_f32_e32 v21, 0x3f167918, v9
	v_sub_f32_e32 v9, v15, v19
	v_fmac_f32_e32 v22, 0x3e9e377a, v3
	v_fmac_f32_e32 v21, 0x3e9e377a, v3
	v_add_f32_e32 v3, v4, v12
	v_add_f32_e32 v3, v3, v16
	;; [unrolled: 1-line block ×5, first 2 shown]
	v_fma_f32 v34, -0.5, v3, v4
	v_sub_f32_e32 v3, v11, v23
	v_sub_f32_e32 v11, v24, v20
	v_fmamk_f32 v23, v3, 0x3f737871, v34
	v_fmac_f32_e32 v34, 0xbf737871, v3
	v_add_f32_e32 v10, v10, v11
	v_sub_f32_e32 v11, v20, v24
	v_fmac_f32_e32 v23, 0x3f167918, v9
	v_fmac_f32_e32 v34, 0xbf167918, v9
	v_fmac_f32_e32 v23, 0x3e9e377a, v10
	v_fmac_f32_e32 v34, 0x3e9e377a, v10
	v_add_f32_e32 v10, v12, v24
	v_mul_f32_e32 v20, 0xbf167918, v23
	v_mul_f32_e32 v37, 0x3f4f1bbd, v23
	v_fmac_f32_e32 v4, -0.5, v10
	v_sub_f32_e32 v10, v16, v12
	v_mul_f32_e32 v36, 0xbf167918, v34
	v_mul_f32_e32 v34, 0xbf4f1bbd, v34
	v_fmac_f32_e32 v20, 0x3f4f1bbd, v14
	v_fmamk_f32 v19, v9, 0xbf737871, v4
	v_fmac_f32_e32 v4, 0x3f737871, v9
	v_add_f32_e32 v10, v10, v11
	v_add_f32_e32 v9, v6, v17
	v_fmac_f32_e32 v37, 0x3f167918, v14
	v_fmac_f32_e32 v19, 0x3f167918, v3
	;; [unrolled: 1-line block ×3, first 2 shown]
	v_sub_f32_e32 v17, v6, v17
	v_mul_u32_u24_e32 v6, 0x7d0, v7
	v_fmac_f32_e32 v36, 0xbf4f1bbd, v18
	v_fmac_f32_e32 v19, 0x3e9e377a, v10
	;; [unrolled: 1-line block ×4, first 2 shown]
	v_add_f32_e32 v11, v28, v20
	v_add_f32_e32 v10, v27, v33
	v_mul_f32_e32 v24, 0xbf737871, v19
	v_mul_f32_e32 v35, 0xbf737871, v4
	;; [unrolled: 1-line block ×4, first 2 shown]
	v_add_f32_e32 v12, v31, v37
	v_fmac_f32_e32 v24, 0x3e9e377a, v22
	v_fmac_f32_e32 v35, 0xbe9e377a, v21
	;; [unrolled: 1-line block ×4, first 2 shown]
	v_add3_u32 v6, 0, v6, v25
	v_add_f32_e32 v13, v30, v24
	v_add_f32_e32 v3, v1, v35
	v_add_f32_e32 v14, v32, v38
	v_add_f32_e32 v4, v2, v39
	v_add_f32_e32 v15, v26, v36
	v_add_f32_e32 v16, v29, v34
	v_sub_f32_e32 v18, v27, v33
	v_sub_f32_e32 v19, v28, v20
	;; [unrolled: 1-line block ×9, first 2 shown]
	ds_write2_b64 v6, v[9:10], v[11:12] offset1:25
	ds_write2_b64 v6, v[13:14], v[3:4] offset0:50 offset1:75
	ds_write2_b64 v6, v[15:16], v[17:18] offset0:100 offset1:125
	;; [unrolled: 1-line block ×4, first 2 shown]
	v_mad_i32_i24 v6, 0xfffff8f8, v7, v6
	s_waitcnt lgkmcnt(0)
	s_barrier
	buffer_gl0_inv
	v_add_nc_u32_e32 v9, 0xf80, v6
	ds_read2_b64 v[1:4], v6 offset1:250
	ds_read2_b64 v[10:13], v9 offset0:4 offset1:254
	v_add_nc_u32_e32 v9, 0x1f40, v6
	ds_read2_b64 v[14:17], v9 offset1:250
	v_add_nc_u32_e32 v9, 0x2ec0, v6
	v_add_nc_u32_e32 v6, 0x3e80, v6
	ds_read2_b64 v[18:21], v9 offset0:4 offset1:254
	ds_read2_b64 v[22:25], v6 offset1:250
	v_mul_lo_u16 v6, v7, 26
	v_lshrrev_b16 v6, 8, v6
	v_mul_lo_u16 v6, v6, 10
	v_sub_nc_u16 v6, v7, v6
	v_and_b32_e32 v9, 0xff, v6
	v_mul_u32_u24_e32 v6, 9, v9
	v_add_nc_u32_sdwa v0, v9, v0 dst_sel:DWORD dst_unused:UNUSED_PAD src0_sel:DWORD src1_sel:WORD_0
	v_lshlrev_b32_e32 v6, 3, v6
	s_clause 0x3
	global_load_dwordx4 v[26:29], v6, s[10:11] offset:48
	global_load_dwordx4 v[30:33], v6, s[10:11] offset:32
	;; [unrolled: 1-line block ×3, first 2 shown]
	global_load_dwordx4 v[38:41], v6, s[10:11]
	s_waitcnt vmcnt(0) lgkmcnt(4)
	v_mul_f32_e32 v7, v39, v4
	v_fmac_f32_e32 v7, v38, v3
	v_mul_f32_e32 v3, v39, v3
	s_waitcnt lgkmcnt(3)
	v_mul_f32_e32 v39, v41, v11
	v_fma_f32 v38, v38, v4, -v3
	v_mul_f32_e32 v3, v41, v10
	v_fmac_f32_e32 v39, v40, v10
	v_fma_f32 v10, v40, v11, -v3
	v_mul_f32_e32 v11, v35, v13
	v_mul_f32_e32 v3, v35, v12
	v_fmac_f32_e32 v11, v34, v12
	v_fma_f32 v12, v34, v13, -v3
	s_waitcnt lgkmcnt(2)
	v_mul_f32_e32 v13, v37, v15
	v_mul_f32_e32 v3, v37, v14
	v_fmac_f32_e32 v13, v36, v14
	v_fma_f32 v14, v36, v15, -v3
	v_mul_f32_e32 v15, v31, v17
	v_mul_f32_e32 v3, v31, v16
	v_fmac_f32_e32 v15, v30, v16
	v_fma_f32 v16, v30, v17, -v3
	s_waitcnt lgkmcnt(1)
	v_mul_f32_e32 v17, v19, v33
	v_mul_f32_e32 v3, v18, v33
	v_fmac_f32_e32 v17, v18, v32
	v_fma_f32 v18, v19, v32, -v3
	v_mul_f32_e32 v19, v21, v27
	v_mul_f32_e32 v3, v20, v27
	v_sub_f32_e32 v27, v39, v13
	v_fmac_f32_e32 v19, v20, v26
	v_fma_f32 v20, v21, v26, -v3
	s_waitcnt lgkmcnt(0)
	v_mul_f32_e32 v21, v23, v29
	v_mul_f32_e32 v3, v22, v29
	v_sub_f32_e32 v26, v14, v18
	v_fmac_f32_e32 v21, v22, v28
	v_fma_f32 v22, v23, v28, -v3
	global_load_dwordx2 v[3:4], v6, s[10:11] offset:64
	v_add_f32_e32 v23, v13, v17
	v_sub_f32_e32 v28, v21, v17
	v_sub_f32_e32 v29, v17, v21
	v_fma_f32 v23, -0.5, v23, v1
	v_add_f32_e32 v27, v27, v28
	v_sub_f32_e32 v28, v13, v39
	v_add_f32_e32 v28, v28, v29
	v_sub_f32_e32 v29, v22, v18
	s_waitcnt vmcnt(0)
	v_mul_f32_e32 v6, v25, v4
	v_mul_f32_e32 v4, v24, v4
	v_fmac_f32_e32 v6, v24, v3
	v_sub_f32_e32 v24, v10, v22
	v_fma_f32 v3, v25, v3, -v4
	v_add_f32_e32 v4, v1, v39
	v_sub_f32_e32 v30, v19, v6
	v_fmamk_f32 v25, v24, 0xbf737871, v23
	v_fmac_f32_e32 v23, 0x3f737871, v24
	v_add_f32_e32 v4, v4, v13
	v_sub_f32_e32 v13, v13, v17
	v_fmac_f32_e32 v25, 0xbf167918, v26
	v_fmac_f32_e32 v23, 0x3f167918, v26
	v_add_f32_e32 v4, v4, v17
	v_sub_f32_e32 v17, v10, v14
	v_fmac_f32_e32 v25, 0x3e9e377a, v27
	v_fmac_f32_e32 v23, 0x3e9e377a, v27
	v_add_f32_e32 v27, v39, v21
	v_add_f32_e32 v4, v4, v21
	v_sub_f32_e32 v21, v39, v21
	v_add_f32_e32 v17, v17, v29
	v_fma_f32 v1, -0.5, v27, v1
	v_fmamk_f32 v27, v26, 0x3f737871, v1
	v_fmac_f32_e32 v1, 0xbf737871, v26
	v_add_f32_e32 v26, v14, v18
	v_fmac_f32_e32 v27, 0xbf167918, v24
	v_fmac_f32_e32 v1, 0x3f167918, v24
	v_fma_f32 v26, -0.5, v26, v2
	v_add_f32_e32 v24, v2, v10
	v_fmac_f32_e32 v27, 0x3e9e377a, v28
	v_fmac_f32_e32 v1, 0x3e9e377a, v28
	v_fmamk_f32 v28, v21, 0x3f737871, v26
	v_fmac_f32_e32 v26, 0xbf737871, v21
	v_add_f32_e32 v24, v24, v14
	v_fmac_f32_e32 v28, 0x3f167918, v13
	v_fmac_f32_e32 v26, 0xbf167918, v13
	v_add_f32_e32 v24, v24, v18
	v_fmac_f32_e32 v28, 0x3e9e377a, v17
	v_fmac_f32_e32 v26, 0x3e9e377a, v17
	v_add_f32_e32 v17, v10, v22
	v_sub_f32_e32 v10, v14, v10
	v_sub_f32_e32 v14, v18, v22
	v_add_f32_e32 v24, v24, v22
	v_sub_f32_e32 v18, v16, v20
	v_fma_f32 v2, -0.5, v17, v2
	v_sub_f32_e32 v22, v6, v19
	v_add_f32_e32 v10, v10, v14
	v_sub_f32_e32 v14, v12, v3
	v_fmamk_f32 v29, v13, 0xbf737871, v2
	v_fmac_f32_e32 v2, 0x3f737871, v13
	v_add_f32_e32 v13, v15, v19
	v_fmac_f32_e32 v29, 0x3f167918, v21
	v_fmac_f32_e32 v2, 0xbf167918, v21
	v_fma_f32 v13, -0.5, v13, v7
	v_sub_f32_e32 v21, v11, v15
	v_fmac_f32_e32 v29, 0x3e9e377a, v10
	v_fmac_f32_e32 v2, 0x3e9e377a, v10
	v_fmamk_f32 v17, v14, 0xbf737871, v13
	v_fmac_f32_e32 v13, 0x3f737871, v14
	v_add_f32_e32 v21, v21, v22
	v_add_f32_e32 v10, v7, v11
	v_sub_f32_e32 v22, v15, v11
	v_fmac_f32_e32 v17, 0xbf167918, v18
	v_fmac_f32_e32 v13, 0x3f167918, v18
	v_add_f32_e32 v10, v10, v15
	v_add_f32_e32 v22, v22, v30
	v_fmac_f32_e32 v17, 0x3e9e377a, v21
	v_fmac_f32_e32 v13, 0x3e9e377a, v21
	v_add_f32_e32 v21, v11, v6
	v_add_f32_e32 v10, v10, v19
	v_sub_f32_e32 v15, v15, v19
	v_sub_f32_e32 v19, v3, v20
	v_fmac_f32_e32 v7, -0.5, v21
	v_add_f32_e32 v10, v10, v6
	v_sub_f32_e32 v6, v11, v6
	v_fmamk_f32 v21, v18, 0x3f737871, v7
	v_fmac_f32_e32 v7, 0xbf737871, v18
	v_sub_f32_e32 v18, v12, v16
	v_fmac_f32_e32 v21, 0xbf167918, v14
	v_fmac_f32_e32 v7, 0x3f167918, v14
	v_add_f32_e32 v14, v38, v12
	v_add_f32_e32 v18, v18, v19
	v_fmac_f32_e32 v21, 0x3e9e377a, v22
	v_fmac_f32_e32 v7, 0x3e9e377a, v22
	v_add_f32_e32 v14, v14, v16
	v_add_f32_e32 v14, v14, v20
	v_add_f32_e32 v30, v14, v3
	v_add_f32_e32 v14, v16, v20
	v_add_f32_e32 v34, v24, v30
	v_fma_f32 v14, -0.5, v14, v38
	v_fmamk_f32 v11, v6, 0x3f737871, v14
	v_fmac_f32_e32 v14, 0xbf737871, v6
	v_fmac_f32_e32 v11, 0x3f167918, v15
	;; [unrolled: 1-line block ×5, first 2 shown]
	v_add_f32_e32 v18, v12, v3
	v_sub_f32_e32 v12, v16, v12
	v_sub_f32_e32 v3, v20, v3
	v_mul_f32_e32 v19, 0xbf167918, v14
	v_fmac_f32_e32 v38, -0.5, v18
	v_add_f32_e32 v3, v12, v3
	v_fmac_f32_e32 v19, 0xbf4f1bbd, v13
	v_fmamk_f32 v18, v15, 0xbf737871, v38
	v_fmac_f32_e32 v38, 0x3f737871, v15
	v_add_f32_e32 v20, v23, v19
	v_fmac_f32_e32 v18, 0x3f167918, v6
	v_fmac_f32_e32 v38, 0xbf167918, v6
	v_add_f32_e32 v6, v4, v10
	v_fmac_f32_e32 v18, 0x3e9e377a, v3
	v_fmac_f32_e32 v38, 0x3e9e377a, v3
	v_mul_f32_e32 v3, 0xbf167918, v11
	v_mul_f32_e32 v11, 0x3f4f1bbd, v11
	;; [unrolled: 1-line block ×5, first 2 shown]
	v_fmac_f32_e32 v11, 0x3f167918, v17
	v_fmac_f32_e32 v3, 0x3f4f1bbd, v17
	v_fmac_f32_e32 v12, 0x3e9e377a, v21
	v_fmac_f32_e32 v36, 0x3f737871, v21
	v_mul_f32_e32 v21, 0xbe9e377a, v38
	v_fmac_f32_e32 v15, 0xbe9e377a, v7
	v_add_f32_e32 v35, v28, v11
	v_sub_f32_e32 v17, v28, v11
	v_add_f32_e32 v31, v25, v3
	v_fmac_f32_e32 v21, 0x3f737871, v7
	v_mul_f32_e32 v7, 0xbf4f1bbd, v14
	v_sub_f32_e32 v16, v25, v3
	v_add_f32_e32 v32, v27, v12
	v_add_f32_e32 v33, v1, v15
	v_add_f32_e32 v38, v2, v21
	v_fmac_f32_e32 v7, 0x3f167918, v13
	v_sub_f32_e32 v13, v2, v21
	v_mov_b32_e32 v21, 3
	v_sub_f32_e32 v14, v27, v12
	v_sub_f32_e32 v12, v1, v15
	v_add_f32_e32 v22, v26, v7
	v_sub_f32_e32 v11, v26, v7
	v_mul_lo_u32 v7, v5, v9
	v_sub_f32_e32 v18, v4, v10
	v_sub_f32_e32 v10, v23, v19
	;; [unrolled: 1-line block ×3, first 2 shown]
	v_add_f32_e32 v37, v29, v36
	v_sub_f32_e32 v15, v29, v36
	v_bfe_u32 v3, v7, 8, 8
	v_lshlrev_b32_sdwa v1, v21, v7 dst_sel:DWORD dst_unused:UNUSED_PAD src0_sel:DWORD src1_sel:BYTE_0
	v_lshl_or_b32 v3, v3, 3, 0x800
	s_clause 0x1
	global_load_dwordx2 v[1:2], v1, s[4:5]
	global_load_dwordx2 v[3:4], v3, s[4:5]
	s_waitcnt vmcnt(0)
	v_mul_f32_e32 v23, v2, v4
	v_mul_f32_e32 v4, v1, v4
	v_fma_f32 v23, v1, v3, -v23
	v_bfe_u32 v1, v7, 16, 8
	v_fmac_f32_e32 v4, v2, v3
	v_lshl_or_b32 v1, v1, 3, 0x1000
	global_load_dwordx2 v[1:2], v1, s[4:5]
	s_waitcnt vmcnt(0)
	v_mul_f32_e32 v3, v4, v2
	v_mul_f32_e32 v2, v23, v2
	v_fma_f32 v3, v1, v23, -v3
	v_fmac_f32_e32 v2, v1, v4
	v_mul_f32_e32 v1, v34, v2
	v_mul_f32_e32 v2, v6, v2
	v_fmac_f32_e32 v1, v6, v3
	v_fma_f32 v2, v34, v3, -v2
	v_add_nc_u32_e32 v3, 10, v9
	v_mul_lo_u32 v23, v5, v3
	v_bfe_u32 v6, v23, 8, 8
	v_lshlrev_b32_sdwa v3, v21, v23 dst_sel:DWORD dst_unused:UNUSED_PAD src0_sel:DWORD src1_sel:BYTE_0
	v_lshl_or_b32 v6, v6, 3, 0x800
	s_clause 0x1
	global_load_dwordx2 v[3:4], v3, s[4:5]
	global_load_dwordx2 v[6:7], v6, s[4:5]
	s_waitcnt vmcnt(0)
	v_mul_f32_e32 v24, v4, v7
	v_mul_f32_e32 v7, v3, v7
	v_fma_f32 v24, v3, v6, -v24
	v_bfe_u32 v3, v23, 16, 8
	v_fmac_f32_e32 v7, v4, v6
	v_lshl_or_b32 v3, v3, 3, 0x1000
	global_load_dwordx2 v[3:4], v3, s[4:5]
	s_waitcnt vmcnt(0)
	v_mul_f32_e32 v6, v7, v4
	v_mul_f32_e32 v4, v24, v4
	v_fma_f32 v6, v3, v24, -v6
	v_fmac_f32_e32 v4, v3, v7
	v_mul_f32_e32 v3, v35, v4
	v_mul_f32_e32 v4, v31, v4
	v_fmac_f32_e32 v3, v31, v6
	v_fma_f32 v4, v35, v6, -v4
	v_add_nc_u32_e32 v6, 20, v9
	v_mul_lo_u32 v25, v5, v6
	;; [unrolled: 25-line block ×4, first 2 shown]
	v_bfe_u32 v27, v29, 8, 8
	v_lshlrev_b32_sdwa v25, v21, v29 dst_sel:DWORD dst_unused:UNUSED_PAD src0_sel:DWORD src1_sel:BYTE_0
	v_lshl_or_b32 v27, v27, 3, 0x800
	s_clause 0x1
	global_load_dwordx2 v[25:26], v25, s[4:5]
	global_load_dwordx2 v[27:28], v27, s[4:5]
	s_waitcnt vmcnt(0)
	v_mul_f32_e32 v30, v26, v28
	v_mul_f32_e32 v28, v25, v28
	v_fma_f32 v30, v25, v27, -v30
	v_bfe_u32 v25, v29, 16, 8
	v_fmac_f32_e32 v28, v26, v27
	v_lshl_or_b32 v25, v25, 3, 0x1000
	global_load_dwordx2 v[25:26], v25, s[4:5]
	s_waitcnt vmcnt(0)
	v_mul_f32_e32 v27, v28, v26
	v_mul_f32_e32 v26, v30, v26
	v_fma_f32 v27, v25, v30, -v27
	v_fmac_f32_e32 v26, v25, v28
	v_mul_f32_e32 v25, v22, v26
	v_fmac_f32_e32 v25, v20, v27
	v_mul_f32_e32 v20, v20, v26
	v_fma_f32 v26, v22, v27, -v20
	v_add_nc_u32_e32 v20, 50, v9
	v_mul_lo_u32 v20, v5, v20
	v_lshlrev_b32_sdwa v22, v21, v20 dst_sel:DWORD dst_unused:UNUSED_PAD src0_sel:DWORD src1_sel:BYTE_0
	global_load_dwordx2 v[27:28], v22, s[4:5]
	v_bfe_u32 v22, v20, 8, 8
	v_bfe_u32 v20, v20, 16, 8
	v_lshl_or_b32 v22, v22, 3, 0x800
	v_lshl_or_b32 v20, v20, 3, 0x1000
	global_load_dwordx2 v[29:30], v22, s[4:5]
	s_waitcnt vmcnt(0)
	v_mul_f32_e32 v22, v28, v30
	v_mul_f32_e32 v30, v27, v30
	v_fma_f32 v22, v27, v29, -v22
	v_fmac_f32_e32 v30, v28, v29
	global_load_dwordx2 v[27:28], v20, s[4:5]
	s_waitcnt vmcnt(0)
	v_mul_f32_e32 v20, v30, v28
	v_fma_f32 v20, v27, v22, -v20
	v_mul_f32_e32 v22, v22, v28
	v_fmac_f32_e32 v22, v27, v30
	v_mul_f32_e32 v27, v19, v22
	v_fmac_f32_e32 v27, v18, v20
	v_mul_f32_e32 v18, v18, v22
	v_fma_f32 v28, v19, v20, -v18
	v_add_nc_u32_e32 v18, 60, v9
	v_mul_lo_u32 v20, v5, v18
	v_bfe_u32 v22, v20, 8, 8
	v_lshlrev_b32_sdwa v18, v21, v20 dst_sel:DWORD dst_unused:UNUSED_PAD src0_sel:DWORD src1_sel:BYTE_0
	v_lshl_or_b32 v22, v22, 3, 0x800
	s_clause 0x1
	global_load_dwordx2 v[18:19], v18, s[4:5]
	global_load_dwordx2 v[29:30], v22, s[4:5]
	s_waitcnt vmcnt(0)
	v_mul_f32_e32 v22, v19, v30
	v_mul_f32_e32 v30, v18, v30
	v_fma_f32 v22, v18, v29, -v22
	v_bfe_u32 v18, v20, 16, 8
	v_fmac_f32_e32 v30, v19, v29
	v_lshl_or_b32 v18, v18, 3, 0x1000
	global_load_dwordx2 v[18:19], v18, s[4:5]
	s_waitcnt vmcnt(0)
	v_mul_f32_e32 v20, v30, v19
	v_mul_f32_e32 v19, v22, v19
	v_fma_f32 v20, v18, v22, -v20
	v_fmac_f32_e32 v19, v18, v30
	v_mul_f32_e32 v18, v17, v19
	v_fmac_f32_e32 v18, v16, v20
	v_mul_f32_e32 v16, v16, v19
	v_fma_f32 v19, v17, v20, -v16
	v_add_nc_u32_e32 v16, 0x46, v9
	v_mul_lo_u32 v20, v5, v16
	v_bfe_u32 v22, v20, 8, 8
	v_lshlrev_b32_sdwa v16, v21, v20 dst_sel:DWORD dst_unused:UNUSED_PAD src0_sel:DWORD src1_sel:BYTE_0
	v_lshl_or_b32 v22, v22, 3, 0x800
	s_clause 0x1
	global_load_dwordx2 v[16:17], v16, s[4:5]
	global_load_dwordx2 v[29:30], v22, s[4:5]
	s_waitcnt vmcnt(0)
	v_mul_f32_e32 v22, v17, v30
	v_mul_f32_e32 v30, v16, v30
	v_fma_f32 v22, v16, v29, -v22
	v_bfe_u32 v16, v20, 16, 8
	v_fmac_f32_e32 v30, v17, v29
	v_lshl_or_b32 v16, v16, 3, 0x1000
	global_load_dwordx2 v[16:17], v16, s[4:5]
	s_waitcnt vmcnt(0)
	v_mul_f32_e32 v20, v30, v17
	v_mul_f32_e32 v17, v22, v17
	v_fma_f32 v20, v16, v22, -v20
	v_fmac_f32_e32 v17, v16, v30
	v_mul_f32_e32 v16, v15, v17
	v_fmac_f32_e32 v16, v14, v20
	v_mul_f32_e32 v14, v14, v17
	v_fma_f32 v17, v15, v20, -v14
	v_or_b32_e32 v14, 0x50, v9
	v_mul_lo_u32 v20, v5, v14
	v_bfe_u32 v22, v20, 8, 8
	v_lshlrev_b32_sdwa v14, v21, v20 dst_sel:DWORD dst_unused:UNUSED_PAD src0_sel:DWORD src1_sel:BYTE_0
	v_lshl_or_b32 v22, v22, 3, 0x800
	s_clause 0x1
	global_load_dwordx2 v[14:15], v14, s[4:5]
	global_load_dwordx2 v[29:30], v22, s[4:5]
	s_waitcnt vmcnt(0)
	v_mul_f32_e32 v22, v15, v30
	v_mul_f32_e32 v30, v14, v30
	v_fma_f32 v22, v14, v29, -v22
	v_bfe_u32 v14, v20, 16, 8
	v_fmac_f32_e32 v30, v15, v29
	v_lshl_or_b32 v14, v14, 3, 0x1000
	global_load_dwordx2 v[14:15], v14, s[4:5]
	s_waitcnt vmcnt(0)
	v_mul_f32_e32 v20, v30, v15
	v_mul_f32_e32 v15, v22, v15
	v_fma_f32 v20, v14, v22, -v20
	v_fmac_f32_e32 v15, v14, v30
	v_mul_f32_e32 v14, v13, v15
	v_fmac_f32_e32 v14, v12, v20
	v_mul_f32_e32 v12, v12, v15
	v_fma_f32 v15, v13, v20, -v12
	v_add_nc_u32_e32 v12, 0x5a, v9
	v_mul_lo_u32 v5, v5, v12
	v_bfe_u32 v20, v5, 8, 8
	v_lshlrev_b32_sdwa v12, v21, v5 dst_sel:DWORD dst_unused:UNUSED_PAD src0_sel:DWORD src1_sel:BYTE_0
	v_bfe_u32 v5, v5, 16, 8
	v_lshl_or_b32 v20, v20, 3, 0x800
	global_load_dwordx2 v[12:13], v12, s[4:5]
	v_lshl_or_b32 v5, v5, 3, 0x1000
	global_load_dwordx2 v[20:21], v20, s[4:5]
	s_waitcnt vmcnt(0)
	v_mul_f32_e32 v22, v13, v21
	v_mul_f32_e32 v21, v12, v21
	v_fma_f32 v22, v12, v20, -v22
	v_fmac_f32_e32 v21, v13, v20
	global_load_dwordx2 v[12:13], v5, s[4:5]
	s_waitcnt vmcnt(0)
	v_mul_f32_e32 v5, v21, v13
	v_mul_f32_e32 v13, v22, v13
	v_fma_f32 v5, v12, v22, -v5
	v_fmac_f32_e32 v13, v12, v21
	v_mul_f32_e32 v12, v11, v13
	v_fmac_f32_e32 v12, v10, v5
	v_mul_f32_e32 v10, v10, v13
	v_fma_f32 v13, v11, v5, -v10
	v_mul_lo_u32 v5, s8, v0
	v_add_lshl_u32 v5, v8, v5, 3
	v_cndmask_b32_e32 v5, -1, v5, vcc_lo
	buffer_store_dwordx2 v[1:2], v5, s[0:3], s6 offen
	v_add_nc_u32_e32 v1, 10, v0
	v_mul_lo_u32 v1, s8, v1
	v_add_lshl_u32 v1, v8, v1, 3
	v_cndmask_b32_e32 v1, -1, v1, vcc_lo
	buffer_store_dwordx2 v[3:4], v1, s[0:3], s6 offen
	v_add_nc_u32_e32 v1, 20, v0
	v_mul_lo_u32 v1, s8, v1
	v_add_lshl_u32 v1, v8, v1, 3
	v_cndmask_b32_e32 v1, -1, v1, vcc_lo
	buffer_store_dwordx2 v[6:7], v1, s[0:3], s6 offen
	v_add_nc_u32_e32 v1, 30, v0
	v_mul_lo_u32 v1, s8, v1
	v_add_lshl_u32 v1, v8, v1, 3
	v_cndmask_b32_e32 v1, -1, v1, vcc_lo
	buffer_store_dwordx2 v[23:24], v1, s[0:3], s6 offen
	v_add_nc_u32_e32 v1, 40, v0
	v_mul_lo_u32 v1, s8, v1
	v_add_lshl_u32 v1, v8, v1, 3
	v_cndmask_b32_e32 v1, -1, v1, vcc_lo
	buffer_store_dwordx2 v[25:26], v1, s[0:3], s6 offen
	v_add_nc_u32_e32 v1, 50, v0
	v_mul_lo_u32 v1, s8, v1
	v_add_lshl_u32 v1, v8, v1, 3
	v_cndmask_b32_e32 v1, -1, v1, vcc_lo
	buffer_store_dwordx2 v[27:28], v1, s[0:3], s6 offen
	v_add_nc_u32_e32 v1, 60, v0
	v_mul_lo_u32 v1, s8, v1
	v_add_lshl_u32 v1, v8, v1, 3
	v_cndmask_b32_e32 v1, -1, v1, vcc_lo
	buffer_store_dwordx2 v[18:19], v1, s[0:3], s6 offen
	v_add_nc_u32_e32 v1, 0x46, v0
	v_mul_lo_u32 v1, s8, v1
	v_add_lshl_u32 v1, v8, v1, 3
	v_cndmask_b32_e32 v1, -1, v1, vcc_lo
	buffer_store_dwordx2 v[16:17], v1, s[0:3], s6 offen
	v_add_nc_u32_e32 v1, 0x50, v0
	v_add_nc_u32_e32 v0, 0x5a, v0
	v_mul_lo_u32 v1, s8, v1
	v_mul_lo_u32 v0, s8, v0
	v_add_lshl_u32 v1, v8, v1, 3
	v_add_lshl_u32 v0, v8, v0, 3
	v_cndmask_b32_e32 v1, -1, v1, vcc_lo
	v_cndmask_b32_e32 v0, -1, v0, vcc_lo
	buffer_store_dwordx2 v[14:15], v1, s[0:3], s6 offen
	buffer_store_dwordx2 v[12:13], v0, s[0:3], s6 offen
	s_endpgm
	.section	.rodata,"a",@progbits
	.p2align	6, 0x0
	.amdhsa_kernel fft_rtc_back_len100_factors_10_10_wgs_250_tpt_10_dim2_sp_ip_CI_sbcc_twdbase8_3step_dirReg_intrinsicReadWrite
		.amdhsa_group_segment_fixed_size 0
		.amdhsa_private_segment_fixed_size 0
		.amdhsa_kernarg_size 88
		.amdhsa_user_sgpr_count 6
		.amdhsa_user_sgpr_private_segment_buffer 1
		.amdhsa_user_sgpr_dispatch_ptr 0
		.amdhsa_user_sgpr_queue_ptr 0
		.amdhsa_user_sgpr_kernarg_segment_ptr 1
		.amdhsa_user_sgpr_dispatch_id 0
		.amdhsa_user_sgpr_flat_scratch_init 0
		.amdhsa_user_sgpr_private_segment_size 0
		.amdhsa_wavefront_size32 1
		.amdhsa_uses_dynamic_stack 0
		.amdhsa_system_sgpr_private_segment_wavefront_offset 0
		.amdhsa_system_sgpr_workgroup_id_x 1
		.amdhsa_system_sgpr_workgroup_id_y 0
		.amdhsa_system_sgpr_workgroup_id_z 0
		.amdhsa_system_sgpr_workgroup_info 0
		.amdhsa_system_vgpr_workitem_id 0
		.amdhsa_next_free_vgpr 42
		.amdhsa_next_free_sgpr 24
		.amdhsa_reserve_vcc 1
		.amdhsa_reserve_flat_scratch 0
		.amdhsa_float_round_mode_32 0
		.amdhsa_float_round_mode_16_64 0
		.amdhsa_float_denorm_mode_32 3
		.amdhsa_float_denorm_mode_16_64 3
		.amdhsa_dx10_clamp 1
		.amdhsa_ieee_mode 1
		.amdhsa_fp16_overflow 0
		.amdhsa_workgroup_processor_mode 1
		.amdhsa_memory_ordered 1
		.amdhsa_forward_progress 0
		.amdhsa_shared_vgpr_count 0
		.amdhsa_exception_fp_ieee_invalid_op 0
		.amdhsa_exception_fp_denorm_src 0
		.amdhsa_exception_fp_ieee_div_zero 0
		.amdhsa_exception_fp_ieee_overflow 0
		.amdhsa_exception_fp_ieee_underflow 0
		.amdhsa_exception_fp_ieee_inexact 0
		.amdhsa_exception_int_div_zero 0
	.end_amdhsa_kernel
	.text
.Lfunc_end0:
	.size	fft_rtc_back_len100_factors_10_10_wgs_250_tpt_10_dim2_sp_ip_CI_sbcc_twdbase8_3step_dirReg_intrinsicReadWrite, .Lfunc_end0-fft_rtc_back_len100_factors_10_10_wgs_250_tpt_10_dim2_sp_ip_CI_sbcc_twdbase8_3step_dirReg_intrinsicReadWrite
                                        ; -- End function
	.section	.AMDGPU.csdata,"",@progbits
; Kernel info:
; codeLenInByte = 5140
; NumSgprs: 26
; NumVgprs: 42
; ScratchSize: 0
; MemoryBound: 0
; FloatMode: 240
; IeeeMode: 1
; LDSByteSize: 0 bytes/workgroup (compile time only)
; SGPRBlocks: 3
; VGPRBlocks: 5
; NumSGPRsForWavesPerEU: 26
; NumVGPRsForWavesPerEU: 42
; Occupancy: 16
; WaveLimiterHint : 0
; COMPUTE_PGM_RSRC2:SCRATCH_EN: 0
; COMPUTE_PGM_RSRC2:USER_SGPR: 6
; COMPUTE_PGM_RSRC2:TRAP_HANDLER: 0
; COMPUTE_PGM_RSRC2:TGID_X_EN: 1
; COMPUTE_PGM_RSRC2:TGID_Y_EN: 0
; COMPUTE_PGM_RSRC2:TGID_Z_EN: 0
; COMPUTE_PGM_RSRC2:TIDIG_COMP_CNT: 0
	.text
	.p2alignl 6, 3214868480
	.fill 48, 4, 3214868480
	.type	__hip_cuid_cbceaefcba648977,@object ; @__hip_cuid_cbceaefcba648977
	.section	.bss,"aw",@nobits
	.globl	__hip_cuid_cbceaefcba648977
__hip_cuid_cbceaefcba648977:
	.byte	0                               ; 0x0
	.size	__hip_cuid_cbceaefcba648977, 1

	.ident	"AMD clang version 19.0.0git (https://github.com/RadeonOpenCompute/llvm-project roc-6.4.0 25133 c7fe45cf4b819c5991fe208aaa96edf142730f1d)"
	.section	".note.GNU-stack","",@progbits
	.addrsig
	.addrsig_sym __hip_cuid_cbceaefcba648977
	.amdgpu_metadata
---
amdhsa.kernels:
  - .args:
      - .actual_access:  read_only
        .address_space:  global
        .offset:         0
        .size:           8
        .value_kind:     global_buffer
      - .address_space:  global
        .offset:         8
        .size:           8
        .value_kind:     global_buffer
      - .actual_access:  read_only
        .address_space:  global
        .offset:         16
        .size:           8
        .value_kind:     global_buffer
      - .actual_access:  read_only
        .address_space:  global
        .offset:         24
        .size:           8
        .value_kind:     global_buffer
      - .offset:         32
        .size:           8
        .value_kind:     by_value
      - .actual_access:  read_only
        .address_space:  global
        .offset:         40
        .size:           8
        .value_kind:     global_buffer
      - .actual_access:  read_only
        .address_space:  global
        .offset:         48
        .size:           8
        .value_kind:     global_buffer
      - .offset:         56
        .size:           4
        .value_kind:     by_value
      - .actual_access:  read_only
        .address_space:  global
        .offset:         64
        .size:           8
        .value_kind:     global_buffer
      - .actual_access:  read_only
        .address_space:  global
        .offset:         72
        .size:           8
        .value_kind:     global_buffer
      - .address_space:  global
        .offset:         80
        .size:           8
        .value_kind:     global_buffer
    .group_segment_fixed_size: 0
    .kernarg_segment_align: 8
    .kernarg_segment_size: 88
    .language:       OpenCL C
    .language_version:
      - 2
      - 0
    .max_flat_workgroup_size: 250
    .name:           fft_rtc_back_len100_factors_10_10_wgs_250_tpt_10_dim2_sp_ip_CI_sbcc_twdbase8_3step_dirReg_intrinsicReadWrite
    .private_segment_fixed_size: 0
    .sgpr_count:     26
    .sgpr_spill_count: 0
    .symbol:         fft_rtc_back_len100_factors_10_10_wgs_250_tpt_10_dim2_sp_ip_CI_sbcc_twdbase8_3step_dirReg_intrinsicReadWrite.kd
    .uniform_work_group_size: 1
    .uses_dynamic_stack: false
    .vgpr_count:     42
    .vgpr_spill_count: 0
    .wavefront_size: 32
    .workgroup_processor_mode: 1
amdhsa.target:   amdgcn-amd-amdhsa--gfx1030
amdhsa.version:
  - 1
  - 2
...

	.end_amdgpu_metadata
